;; amdgpu-corpus repo=zjin-lcf/HeCBench kind=compiled arch=gfx1030 opt=O3
	.amdgcn_target "amdgcn-amd-amdhsa--gfx1030"
	.amdhsa_code_object_version 6
	.text
	.protected	_Z8svd3_SOAPKfPfi       ; -- Begin function _Z8svd3_SOAPKfPfi
	.globl	_Z8svd3_SOAPKfPfi
	.p2align	8
	.type	_Z8svd3_SOAPKfPfi,@function
_Z8svd3_SOAPKfPfi:                      ; @_Z8svd3_SOAPKfPfi
; %bb.0:
	s_clause 0x1
	s_load_dword s0, s[4:5], 0x24
	s_load_dword s8, s[4:5], 0x10
	s_waitcnt lgkmcnt(0)
	s_and_b32 s0, s0, 0xffff
	v_mad_u64_u32 v[1:2], null, s6, s0, v[0:1]
	s_mov_b32 s0, exec_lo
	v_cmpx_gt_i32_e64 s8, v1
	s_cbranch_execz .LBB0_4
; %bb.1:
	v_add_nc_u32_e32 v0, s8, v1
	v_ashrrev_i32_e32 v2, 31, v1
	s_load_dwordx4 s[4:7], s[4:5], 0x0
	s_ashr_i32 s9, s8, 31
	s_lshl_b64 s[0:1], s[8:9], 2
	v_add_nc_u32_e32 v3, s8, v0
	v_lshlrev_b64 v[13:14], 2, v[1:2]
	v_add_nc_u32_e32 v5, s8, v3
	v_ashrrev_i32_e32 v4, 31, v3
	v_add_nc_u32_e32 v1, s8, v5
	v_ashrrev_i32_e32 v6, 31, v5
	v_lshlrev_b64 v[9:10], 2, v[3:4]
	v_add_nc_u32_e32 v11, s8, v1
	v_lshlrev_b64 v[3:4], 2, v[5:6]
	s_waitcnt lgkmcnt(0)
	v_add_co_u32 v7, vcc_lo, s4, v13
	v_ashrrev_i32_e32 v2, 31, v1
	v_ashrrev_i32_e32 v12, 31, v11
	v_add_co_ci_u32_e64 v8, null, s5, v14, vcc_lo
	v_add_co_u32 v18, vcc_lo, v7, s0
	v_lshlrev_b64 v[5:6], 2, v[11:12]
	v_add_nc_u32_e32 v11, s8, v11
	v_lshlrev_b64 v[16:17], 2, v[1:2]
	v_add_co_ci_u32_e64 v19, null, s1, v8, vcc_lo
	v_add_co_u32 v30, vcc_lo, s4, v9
	v_add_nc_u32_e32 v25, s8, v11
	v_add_co_ci_u32_e64 v31, null, s5, v10, vcc_lo
	v_add_co_u32 v1, vcc_lo, s4, v3
	v_add_nc_u32_e32 v20, s8, v25
	v_ashrrev_i32_e32 v12, 31, v11
	v_add_co_ci_u32_e64 v2, null, s5, v4, vcc_lo
	v_add_co_u32 v23, vcc_lo, s4, v16
	v_ashrrev_i32_e32 v26, 31, v25
	v_add_co_ci_u32_e64 v24, null, s5, v17, vcc_lo
	v_add_co_u32 v32, vcc_lo, s4, v5
	v_ashrrev_i32_e32 v21, 31, v20
	v_lshlrev_b64 v[11:12], 2, v[11:12]
	v_add_co_ci_u32_e64 v33, null, s5, v6, vcc_lo
	s_clause 0x4
	global_load_dword v22, v[7:8], off
	global_load_dword v27, v[18:19], off
	;; [unrolled: 1-line block ×5, first 2 shown]
	v_lshlrev_b64 v[18:19], 2, v[25:26]
	v_lshlrev_b64 v[1:2], 2, v[20:21]
	v_add_co_u32 v7, vcc_lo, s4, v11
	v_add_co_ci_u32_e64 v8, null, s5, v12, vcc_lo
	v_add_co_u32 v32, vcc_lo, s4, v18
	v_add_co_ci_u32_e64 v33, null, s5, v19, vcc_lo
	;; [unrolled: 2-line block ×3, first 2 shown]
	s_clause 0x3
	global_load_dword v25, v[7:8], off
	global_load_dword v24, v[30:31], off
	global_load_dword v26, v[32:33], off
	global_load_dword v21, v[34:35], off
	v_mov_b32_e32 v32, 1.0
	v_mov_b32_e32 v30, 0
	v_mov_b32_e32 v31, 0
	;; [unrolled: 1-line block ×3, first 2 shown]
	s_mov_b32 s1, 4
	s_waitcnt vmcnt(6)
	v_mul_f32_e32 v7, v28, v28
	s_waitcnt vmcnt(5)
	v_mul_f32_e32 v15, v28, v29
	v_mul_f32_e32 v8, v29, v29
	s_waitcnt vmcnt(4)
	v_mul_f32_e32 v36, v28, v23
	v_mul_f32_e32 v34, v29, v23
	;; [unrolled: 1-line block ×3, first 2 shown]
	v_fmac_f32_e32 v7, v22, v22
	v_fmac_f32_e32 v15, v22, v27
	;; [unrolled: 1-line block ×3, first 2 shown]
	s_waitcnt vmcnt(3)
	v_fmac_f32_e32 v7, v25, v25
	s_waitcnt vmcnt(2)
	v_fmac_f32_e32 v36, v22, v24
	v_fmac_f32_e32 v34, v27, v24
	;; [unrolled: 1-line block ×3, first 2 shown]
	s_waitcnt vmcnt(1)
	v_fmac_f32_e32 v15, v25, v26
	v_fmac_f32_e32 v8, v26, v26
	s_waitcnt vmcnt(0)
	v_fmac_f32_e32 v36, v25, v21
	v_fmac_f32_e32 v34, v26, v21
	;; [unrolled: 1-line block ×3, first 2 shown]
.LBB0_2:                                ; =>This Inner Loop Header: Depth=1
	v_mul_f32_e32 v39, 0.5, v15
	v_sub_f32_e32 v37, v7, v8
	v_add_f32_e32 v38, v15, v15
	s_add_i32 s1, s1, -1
	s_cmp_lg_u32 s1, 0
	v_mul_f32_e32 v40, v39, v39
	v_cmp_nle_f32_e32 vcc_lo, 0x1e3ce508, v40
	v_cndmask_b32_e64 v40, v37, 1.0, vcc_lo
	v_cndmask_b32_e64 v39, v39, 0, vcc_lo
	v_mul_f32_e32 v42, v40, v40
	v_mul_f32_e32 v41, v39, v39
	v_fma_f32 v43, v39, v39, v42
	v_mul_f32_e32 v41, 0x40ba827a, v41
	v_mul_f32_e32 v44, 0x4f800000, v43
	v_cmp_gt_f32_e32 vcc_lo, 0xf800000, v43
	v_cndmask_b32_e32 v43, v43, v44, vcc_lo
	v_sqrt_f32_e32 v44, v43
	v_add_nc_u32_e32 v45, -1, v44
	v_add_nc_u32_e32 v46, 1, v44
	v_fma_f32 v47, -v45, v44, v43
	v_fma_f32 v48, -v46, v44, v43
	v_cmp_ge_f32_e64 s0, 0, v47
	v_cndmask_b32_e64 v44, v44, v45, s0
	v_cmp_lt_f32_e64 s0, 0, v48
	v_cndmask_b32_e64 v44, v44, v46, s0
	v_mul_f32_e32 v45, 0x37800000, v44
	v_cndmask_b32_e32 v44, v44, v45, vcc_lo
	v_cmp_class_f32_e64 vcc_lo, v43, 0x260
	v_cndmask_b32_e32 v43, v44, v43, vcc_lo
	v_div_scale_f32 v44, null, v43, v43, 1.0
	v_div_scale_f32 v45, vcc_lo, 1.0, v43, 1.0
	v_rcp_f32_e32 v46, v44
	v_fma_f32 v47, -v44, v46, 1.0
	v_fmac_f32_e32 v46, v47, v46
	v_mul_f32_e32 v47, v45, v46
	v_fma_f32 v48, -v44, v47, v45
	v_fmac_f32_e32 v47, v48, v46
	v_fma_f32 v44, -v44, v47, v45
	v_div_fmas_f32 v44, v44, v46, v47
	v_cmp_nle_f32_e32 vcc_lo, v42, v41
	v_div_fixup_f32 v43, v44, v43, 1.0
	v_mul_f32_e32 v40, v40, v43
	v_mul_f32_e32 v39, v39, v43
	v_cndmask_b32_e32 v40, 0x3f6c835f, v40, vcc_lo
	v_cndmask_b32_e32 v39, 0x3ec3ef15, v39, vcc_lo
	v_mul_f32_e32 v41, v40, v40
	v_mul_f32_e32 v42, v40, v39
	;; [unrolled: 1-line block ×5, first 2 shown]
	v_fma_f32 v47, -v39, v39, v41
	v_fmac_f32_e32 v41, v39, v39
	v_mul_f32_e32 v46, v30, v39
	v_add_f32_e32 v42, v42, v42
	v_fmac_f32_e32 v44, v33, v40
	v_fmac_f32_e32 v45, v30, v40
	v_mul_f32_e32 v33, v36, v41
	v_fma_f32 v30, v32, v40, -v46
	v_fma_f32 v31, v31, v40, -v43
	v_mul_f32_e32 v32, v35, v41
	v_mul_f32_e32 v34, v34, v41
	v_mul_f32_e32 v35, v42, v42
	v_mul_f32_e32 v43, v42, v33
	v_mul_f32_e32 v36, v47, v47
	v_mul_f32_e32 v39, v47, v42
	v_mul_f32_e32 v40, v41, v32
	v_mul_f32_e32 v48, v7, v35
	v_fma_f32 v43, v47, v34, -v43
	v_mul_f32_e32 v46, v8, v35
	v_fma_f32 v35, v47, v47, -v35
	v_mul_f32_e32 v37, v37, v39
	v_fmac_f32_e32 v48, v8, v36
	v_mul_f32_e32 v8, 0.5, v43
	v_fmac_f32_e32 v46, v7, v36
	v_mul_f32_e32 v33, v47, v33
	v_fma_f32 v7, v15, v35, -v37
	v_fma_f32 v15, -v38, v39, v48
	v_mul_f32_e32 v35, v8, v8
	v_fmac_f32_e32 v46, v38, v39
	v_fmac_f32_e32 v33, v42, v34
	v_add_f32_e32 v34, v43, v43
	v_fma_f32 v32, -v41, v32, v15
	v_cmp_nle_f32_e32 vcc_lo, 0x1e3ce508, v35
	v_cndmask_b32_e64 v35, v32, 1.0, vcc_lo
	v_cndmask_b32_e64 v8, v8, 0, vcc_lo
	v_mul_f32_e32 v37, v35, v35
	v_mul_f32_e32 v36, v8, v8
	v_fma_f32 v38, v8, v8, v37
	v_mul_f32_e32 v36, 0x40ba827a, v36
	v_mul_f32_e32 v39, 0x4f800000, v38
	v_cmp_gt_f32_e32 vcc_lo, 0xf800000, v38
	v_cndmask_b32_e32 v38, v38, v39, vcc_lo
	v_sqrt_f32_e32 v39, v38
	v_add_nc_u32_e32 v41, -1, v39
	v_add_nc_u32_e32 v42, 1, v39
	v_fma_f32 v47, -v41, v39, v38
	v_fma_f32 v48, -v42, v39, v38
	v_cmp_ge_f32_e64 s0, 0, v47
	v_cndmask_b32_e64 v39, v39, v41, s0
	v_cmp_lt_f32_e64 s0, 0, v48
	v_cndmask_b32_e64 v39, v39, v42, s0
	v_mul_f32_e32 v41, 0x37800000, v39
	v_cndmask_b32_e32 v39, v39, v41, vcc_lo
	v_cmp_class_f32_e64 vcc_lo, v38, 0x260
	v_cndmask_b32_e32 v38, v39, v38, vcc_lo
	v_div_scale_f32 v39, null, v38, v38, 1.0
	v_div_scale_f32 v41, vcc_lo, 1.0, v38, 1.0
	v_rcp_f32_e32 v42, v39
	v_fma_f32 v47, -v39, v42, 1.0
	v_fmac_f32_e32 v42, v47, v42
	v_mul_f32_e32 v47, v41, v42
	v_fma_f32 v48, -v39, v47, v41
	v_fmac_f32_e32 v47, v48, v42
	v_fma_f32 v39, -v39, v47, v41
	v_div_fmas_f32 v39, v39, v42, v47
	v_cmp_nle_f32_e32 vcc_lo, v37, v36
	v_div_fixup_f32 v38, v39, v38, 1.0
	v_mul_f32_e32 v35, v35, v38
	v_mul_f32_e32 v8, v8, v38
	v_cndmask_b32_e32 v35, 0x3f6c835f, v35, vcc_lo
	v_cndmask_b32_e32 v8, 0x3ec3ef15, v8, vcc_lo
	v_mul_f32_e32 v36, v35, v35
	v_mul_f32_e32 v37, v35, v8
	v_mul_f32_e32 v38, v44, v8
	v_mul_f32_e32 v39, v31, v8
	v_mul_f32_e32 v41, v30, v8
	v_fma_f32 v47, -v8, v8, v36
	v_fmac_f32_e32 v36, v8, v8
	v_mul_f32_e32 v42, v45, v8
	v_add_f32_e32 v37, v37, v37
	v_fmac_f32_e32 v41, v44, v35
	v_fma_f32 v8, v30, v35, -v38
	v_mul_f32_e32 v7, v7, v36
	v_fmac_f32_e32 v42, v31, v35
	v_fma_f32 v35, v45, v35, -v39
	v_mul_f32_e32 v31, v33, v36
	v_mul_f32_e32 v33, v37, v37
	;; [unrolled: 1-line block ×7, first 2 shown]
	v_fma_f32 v45, v47, v31, -v45
	v_mul_f32_e32 v30, v46, v36
	v_mul_f32_e32 v46, v40, v33
	v_fma_f32 v33, v47, v47, -v33
	v_mul_f32_e32 v32, v32, v39
	v_fmac_f32_e32 v7, v37, v31
	v_fmac_f32_e32 v48, v40, v38
	v_mul_f32_e32 v31, 0.5, v45
	v_fmac_f32_e32 v46, v15, v38
	v_fma_f32 v15, v43, v33, -v32
	v_mul_f32_e32 v44, v36, v30
	v_fma_f32 v37, -v34, v39, v48
	v_mul_f32_e32 v32, v31, v31
	v_fmac_f32_e32 v46, v34, v39
	v_add_f32_e32 v38, v45, v45
	v_fma_f32 v36, -v36, v30, v37
	v_cmp_nle_f32_e32 vcc_lo, 0x1e3ce508, v32
	v_cndmask_b32_e64 v30, v31, 0, vcc_lo
	v_cndmask_b32_e64 v31, v36, 1.0, vcc_lo
	v_mul_f32_e32 v32, v30, v30
	v_mul_f32_e32 v33, v31, v31
	;; [unrolled: 1-line block ×3, first 2 shown]
	v_fma_f32 v34, v30, v30, v33
	v_mul_f32_e32 v39, 0x4f800000, v34
	v_cmp_gt_f32_e32 vcc_lo, 0xf800000, v34
	v_cndmask_b32_e32 v34, v34, v39, vcc_lo
	v_sqrt_f32_e32 v39, v34
	v_add_nc_u32_e32 v40, -1, v39
	v_add_nc_u32_e32 v43, 1, v39
	v_fma_f32 v47, -v40, v39, v34
	v_fma_f32 v48, -v43, v39, v34
	v_cmp_ge_f32_e64 s0, 0, v47
	v_cndmask_b32_e64 v39, v39, v40, s0
	v_cmp_lt_f32_e64 s0, 0, v48
	v_cndmask_b32_e64 v39, v39, v43, s0
	v_mul_f32_e32 v40, 0x37800000, v39
	v_cndmask_b32_e32 v39, v39, v40, vcc_lo
	v_cmp_class_f32_e64 vcc_lo, v34, 0x260
	v_cndmask_b32_e32 v34, v39, v34, vcc_lo
	v_div_scale_f32 v39, null, v34, v34, 1.0
	v_div_scale_f32 v40, vcc_lo, 1.0, v34, 1.0
	v_rcp_f32_e32 v43, v39
	v_fma_f32 v47, -v39, v43, 1.0
	v_fmac_f32_e32 v43, v47, v43
	v_mul_f32_e32 v47, v40, v43
	v_fma_f32 v48, -v39, v47, v40
	v_fmac_f32_e32 v47, v48, v43
	v_fma_f32 v39, -v39, v47, v40
	v_div_fmas_f32 v39, v39, v43, v47
	v_cmp_nle_f32_e32 vcc_lo, v33, v32
	v_div_fixup_f32 v34, v39, v34, 1.0
	v_mul_f32_e32 v30, v30, v34
	v_mul_f32_e32 v31, v31, v34
	v_cndmask_b32_e32 v32, 0x3ec3ef15, v30, vcc_lo
	v_cndmask_b32_e32 v33, 0x3f6c835f, v31, vcc_lo
	v_mul_f32_e32 v40, v42, v32
	v_mul_f32_e32 v39, v33, v32
	;; [unrolled: 1-line block ×6, first 2 shown]
	v_add_f32_e32 v39, v39, v39
	v_fma_f32 v47, -v32, v32, v34
	v_fmac_f32_e32 v34, v32, v32
	v_fma_f32 v32, v8, v33, -v40
	v_fmac_f32_e32 v31, v42, v33
	v_mul_f32_e32 v40, v39, v39
	v_fmac_f32_e32 v30, v35, v33
	v_fma_f32 v33, v41, v33, -v43
	v_mul_f32_e32 v8, v46, v34
	v_mul_f32_e32 v15, v15, v34
	;; [unrolled: 1-line block ×10, first 2 shown]
	v_fma_f32 v40, v47, v47, -v40
	v_mul_f32_e32 v36, v36, v42
	v_fmac_f32_e32 v35, v37, v41
	v_fmac_f32_e32 v46, v44, v41
	;; [unrolled: 1-line block ×3, first 2 shown]
	v_fma_f32 v15, v47, v7, -v43
	v_fma_f32 v36, v45, v40, -v36
	v_fmac_f32_e32 v35, v38, v42
	v_fma_f32 v7, -v38, v42, v46
	s_cbranch_scc1 .LBB0_2
; %bb.3:
	v_mul_f32_e32 v34, v33, v33
	v_add_co_u32 v9, s3, s6, v9
	v_add_co_ci_u32_e64 v10, null, s7, v10, s3
	v_fmac_f32_e32 v34, v32, v32
	v_add_co_u32 v11, s5, s6, v11
	v_add_co_ci_u32_e64 v12, null, s7, v12, s5
	v_fmac_f32_e32 v34, v31, v31
	v_fmac_f32_e32 v34, v30, v30
	v_mul_f32_e32 v7, 0x4f800000, v34
	v_cmp_gt_f32_e32 vcc_lo, 0xf800000, v34
	v_cndmask_b32_e32 v7, v34, v7, vcc_lo
	v_sqrt_f32_e32 v8, v7
	v_add_nc_u32_e32 v15, -1, v8
	v_add_nc_u32_e32 v35, 1, v8
	v_fma_f32 v36, -v15, v8, v7
	v_fma_f32 v37, -v35, v8, v7
	v_cmp_ge_f32_e64 s0, 0, v36
	v_cmp_lt_f32_e64 s1, 0, v37
	v_cndmask_b32_e64 v8, v8, v15, s0
	v_cmp_class_f32_e64 s0, v7, 0x260
	v_cndmask_b32_e64 v8, v8, v35, s1
	v_mul_f32_e32 v15, 0x37800000, v8
	v_cndmask_b32_e32 v8, v8, v15, vcc_lo
	v_cndmask_b32_e64 v8, v8, v7, s0
	v_add_co_u32 v3, s0, s6, v3
	v_add_co_ci_u32_e64 v4, null, s7, v4, s0
	v_div_scale_f32 v35, null, v8, v8, 1.0
	v_div_scale_f32 v36, vcc_lo, 1.0, v8, 1.0
	v_rcp_f32_e32 v7, v35
	v_fma_f32 v15, -v35, v7, 1.0
	v_fmac_f32_e32 v7, v15, v7
	v_mul_f32_e32 v15, v36, v7
	v_fma_f32 v37, -v35, v15, v36
	v_fmac_f32_e32 v15, v37, v7
	v_fma_f32 v35, -v35, v15, v36
	v_div_fmas_f32 v15, v35, v7, v15
	v_add_co_u32 v7, vcc_lo, s6, v5
	v_add_co_u32 v5, s1, s6, v18
	v_div_fixup_f32 v35, v15, v8, 1.0
	v_add_co_u32 v15, s2, s6, v13
	v_add_co_u32 v13, s4, s6, v16
	v_mul_f32_e32 v8, 0.5, v35
	v_add_nc_u32_e32 v18, s8, v20
	v_mul_f32_e32 v16, v35, v8
	v_add_co_ci_u32_e64 v8, null, s7, v6, vcc_lo
	v_add_co_ci_u32_e64 v6, null, s7, v19, s1
	v_mul_f32_e32 v36, v35, v16
	v_fmac_f32_e32 v35, 0.5, v35
	v_add_nc_u32_e32 v20, s8, v18
	v_add_co_ci_u32_e64 v16, null, s7, v14, s2
	v_add_co_ci_u32_e64 v14, null, s7, v17, s4
	v_fma_f32 v19, -v34, v36, v35
	v_add_nc_u32_e32 v17, s8, v20
	v_mul_f32_e32 v33, v33, v19
	v_mul_f32_e32 v32, v32, v19
	;; [unrolled: 1-line block ×4, first 2 shown]
	v_add_nc_u32_e32 v46, s8, v17
	v_mul_f32_e32 v19, v33, v33
	v_add_f32_e32 v36, v33, v33
	v_add_f32_e32 v37, v34, v34
	;; [unrolled: 1-line block ×3, first 2 shown]
	v_ashrrev_i32_e32 v47, 31, v46
	v_fma_f32 v39, v32, v32, -v19
	v_fmac_f32_e32 v19, v32, v32
	v_mul_f32_e32 v44, v32, v37
	v_mul_f32_e32 v31, v32, v36
	v_mul_f32_e32 v48, v32, v38
	v_fma_f32 v30, -v35, v35, v39
	v_fmac_f32_e32 v39, v35, v35
	v_fma_f32 v40, -v35, v35, v19
	v_fma_f32 v49, v35, v36, -v44
	v_fmac_f32_e32 v44, v35, v36
	v_fma_f32 v19, v34, v38, -v31
	v_fma_f32 v43, -v34, v34, v39
	v_fma_f32 v50, -v34, v34, v40
	v_fma_f32 v32, v33, v37, -v48
	v_fmac_f32_e32 v31, v34, v38
	v_fmac_f32_e32 v48, v33, v37
	v_mul_f32_e32 v36, v29, v43
	v_mul_f32_e32 v42, v28, v50
	;; [unrolled: 1-line block ×5, first 2 shown]
	v_fmac_f32_e32 v36, v28, v49
	v_fmac_f32_e32 v42, v29, v44
	v_mul_f32_e32 v41, v25, v50
	v_mul_f32_e32 v37, v26, v43
	v_fmac_f32_e32 v45, v27, v44
	v_fmac_f32_e32 v38, v22, v49
	v_fmac_f32_e32 v42, v23, v32
	v_fmac_f32_e32 v36, v23, v31
	v_fmac_f32_e32 v35, v28, v48
	v_fmac_f32_e32 v41, v26, v44
	v_fmac_f32_e32 v37, v25, v49
	v_fmac_f32_e32 v45, v24, v32
	v_fmac_f32_e32 v38, v24, v31
	v_mul_f32_e32 v28, v42, v42
	v_mul_f32_e32 v29, v36, v36
	v_fmac_f32_e32 v30, v34, v34
	v_mul_f32_e32 v39, v27, v19
	v_fmac_f32_e32 v41, v21, v32
	v_fmac_f32_e32 v37, v21, v31
	;; [unrolled: 1-line block ×4, first 2 shown]
	v_mul_f32_e32 v40, v26, v19
	v_fmac_f32_e32 v39, v22, v48
	v_fmac_f32_e32 v35, v23, v30
	;; [unrolled: 1-line block ×6, first 2 shown]
	v_mul_f32_e32 v27, v35, v35
	v_xor_b32_e32 v24, v50, v49
	v_cmp_lt_f32_e64 s0, v28, v29
	v_xor_b32_e32 v23, v28, v29
	v_fmac_f32_e32 v40, v21, v30
	v_fmac_f32_e32 v27, v39, v39
	v_lshlrev_b64 v[21:22], 2, v[46:47]
	v_cndmask_b32_e64 v26, 0, v24, s0
	v_cndmask_b32_e64 v34, 0, v23, s0
	v_fmac_f32_e32 v27, v40, v40
	v_xor_b32_e32 v23, v26, v50
	v_xor_b32_e32 v28, v34, v28
	v_add_co_u32 v21, vcc_lo, s6, v21
	v_xor_b32_e32 v29, v34, v29
	v_xor_b32_e32 v24, v23, v48
	v_cmp_gt_f32_e64 s1, v27, v28
	v_cndmask_b32_e64 v34, 1.0, -1.0, s0
	v_add_co_ci_u32_e64 v22, null, s7, v22, vcc_lo
	v_cndmask_b32_e64 v47, 0, v24, s1
	v_cndmask_b32_e64 v33, 1.0, -1.0, s1
	v_xor_b32_e32 v23, v47, v23
	v_mul_f32_e32 v24, v33, v23
	v_add_nc_u32_e32 v23, s8, v46
	v_xor_b32_e32 v46, v26, v49
	v_cndmask_b32_e64 v49, v27, v28, s1
	v_xor_b32_e32 v27, v47, v48
	global_store_dword v[21:22], v24, off
	v_ashrrev_i32_e32 v24, 31, v23
	v_mul_f32_e32 v28, v34, v46
	v_cmp_gt_f32_e64 s2, v49, v29
	v_xor_b32_e32 v29, v42, v36
	v_add_nc_u32_e32 v25, s8, v23
	v_lshlrev_b64 v[23:24], 2, v[23:24]
	v_xor_b32_e32 v47, v27, v28
	v_cndmask_b32_e64 v46, 0, v29, s0
	v_ashrrev_i32_e32 v26, 31, v25
	v_add_nc_u32_e32 v21, s8, v25
	v_cndmask_b32_e64 v29, 0, v47, s2
	v_add_co_u32 v23, vcc_lo, s6, v23
	v_add_co_ci_u32_e64 v24, null, s7, v24, vcc_lo
	v_xor_b32_e32 v47, v43, v44
	v_xor_b32_e32 v48, v46, v42
	;; [unrolled: 1-line block ×3, first 2 shown]
	v_lshlrev_b64 v[25:26], 2, v[25:26]
	v_cndmask_b32_e64 v42, 1.0, -1.0, s2
	v_xor_b32_e32 v27, v29, v27
	v_xor_b32_e32 v29, v45, v38
	v_cndmask_b32_e64 v49, 0, v47, s0
	global_store_dword v[23:24], v28, off
	v_xor_b32_e32 v24, v48, v35
	v_add_co_u32 v25, vcc_lo, s6, v25
	v_add_co_ci_u32_e64 v26, null, s7, v26, vcc_lo
	v_mul_f32_e32 v27, v42, v27
	v_cndmask_b32_e64 v47, 0, v29, s0
	v_xor_b32_e32 v29, v49, v44
	v_cndmask_b32_e64 v44, 0, v24, s1
	v_ashrrev_i32_e32 v22, 31, v21
	global_store_dword v[25:26], v27, off
	v_xor_b32_e32 v24, v47, v45
	v_xor_b32_e32 v25, v29, v19
	;; [unrolled: 1-line block ×3, first 2 shown]
	v_lshlrev_b64 v[22:23], 2, v[21:22]
	v_xor_b32_e32 v43, v49, v43
	v_xor_b32_e32 v27, v24, v39
	v_cndmask_b32_e64 v25, 0, v25, s1
	v_mul_f32_e32 v28, v33, v26
	v_xor_b32_e32 v36, v46, v36
	v_add_co_u32 v22, vcc_lo, s6, v22
	v_cndmask_b32_e64 v45, 0, v27, s1
	v_mul_f32_e32 v27, v28, v28
	v_add_co_ci_u32_e64 v23, null, s7, v23, vcc_lo
	v_xor_b32_e32 v26, v25, v29
	v_xor_b32_e32 v24, v45, v24
	v_cmp_le_f32_e32 vcc_lo, 0x2b8cbccc, v27
	v_xor_b32_e32 v44, v44, v35
	v_xor_b32_e32 v38, v47, v38
	v_mul_f32_e32 v26, v33, v26
	v_mul_f32_e32 v29, v33, v24
	v_fma_f32 v24, -v33, v24, 0
	v_cndmask_b32_e32 v48, 0, v28, vcc_lo
	v_xor_b32_e32 v39, v45, v39
	global_store_dword v[22:23], v26, off
	v_add_co_u32 v22, vcc_lo, s6, v1
	v_max3_f32 v50, v24, v29, 0x2b8cbccc
	v_mul_f32_e32 v51, v48, v48
	v_add_co_ci_u32_e64 v23, null, s7, v2, vcc_lo
	v_mul_f32_e32 v36, v34, v36
	v_mul_f32_e32 v38, v34, v38
	v_fmac_f32_e32 v51, v50, v50
	v_xor_b32_e32 v47, v39, v38
	v_mul_f32_e32 v1, 0x4f800000, v51
	v_cmp_gt_f32_e32 vcc_lo, 0xf800000, v51
	v_cndmask_b32_e64 v47, 0, v47, s2
	v_cndmask_b32_e32 v1, v51, v1, vcc_lo
	v_xor_b32_e32 v38, v47, v38
	v_sqrt_f32_e32 v2, v1
	v_add_nc_u32_e32 v24, -1, v2
	v_fma_f32 v26, -v24, v2, v1
	v_cmp_ge_f32_e64 s3, 0, v26
	v_add_nc_u32_e32 v26, 1, v2
	v_fma_f32 v27, -v26, v2, v1
	v_cndmask_b32_e64 v2, v2, v24, s3
	v_cmp_le_f32_e64 s3, 0, v29
	v_cmp_lt_f32_e64 s4, 0, v27
	v_cndmask_b32_e64 v2, v2, v26, s4
	v_mul_f32_e32 v24, 0x37800000, v2
	v_cndmask_b32_e32 v2, v2, v24, vcc_lo
	v_cmp_class_f32_e64 vcc_lo, v1, 0x260
	v_cndmask_b32_e32 v2, v2, v1, vcc_lo
	v_div_scale_f32 v1, null, v2, v2, 1.0
	v_rcp_f32_e32 v24, v1
	v_fma_f32 v26, -v1, v24, 1.0
	v_fmac_f32_e32 v24, v26, v24
	v_div_scale_f32 v26, vcc_lo, 1.0, v2, 1.0
	v_mul_f32_e32 v27, v26, v24
	v_fma_f32 v52, -v1, v27, v26
	v_fmac_f32_e32 v27, v52, v24
	v_fma_f32 v1, -v1, v27, v26
	v_add_nc_u32_e32 v26, s8, v21
	v_div_fmas_f32 v24, v1, v24, v27
	v_ashrrev_i32_e32 v27, 31, v26
	v_ashrrev_i32_e32 v1, 31, v0
	v_div_fixup_f32 v24, v24, v2, 1.0
	v_lshlrev_b64 v[0:1], 2, v[0:1]
	v_mul_f32_e32 v2, 0.5, v24
	v_add_co_u32 v0, vcc_lo, s6, v0
	v_mul_f32_e32 v2, v24, v2
	v_add_co_ci_u32_e64 v1, null, s7, v1, vcc_lo
	v_mul_f32_e32 v21, v24, v2
	v_fmac_f32_e32 v24, 0.5, v24
	v_xor_b32_e32 v2, v25, v19
	v_fma_f32 v19, -v51, v21, v24
	v_lshlrev_b64 v[24:25], 2, v[26:27]
	v_mul_f32_e32 v27, v34, v43
	v_ashrrev_i32_e32 v21, 31, v20
	v_fmac_f32_e32 v50, v51, v19
	v_xor_b32_e32 v19, v2, v27
	v_add_co_u32 v24, vcc_lo, s6, v24
	v_cndmask_b32_e64 v52, v50, v48, s3
	v_cndmask_b32_e64 v53, v48, v50, s3
	;; [unrolled: 1-line block ×3, first 2 shown]
	v_ashrrev_i32_e32 v19, 31, v18
	v_add_co_ci_u32_e64 v25, null, s7, v25, vcc_lo
	v_mul_f32_e32 v54, v52, v52
	v_lshlrev_b64 v[50:51], 2, v[20:21]
	v_lshlrev_b64 v[48:49], 2, v[18:19]
	v_xor_b32_e32 v27, v43, v27
	v_xor_b32_e32 v2, v43, v2
	v_fmac_f32_e32 v54, v53, v53
	global_store_dword v[24:25], v27, off
	v_add_co_u32 v19, s3, s6, v48
	v_mul_f32_e32 v18, 0x4f800000, v54
	v_cmp_gt_f32_e32 vcc_lo, 0xf800000, v54
	v_add_co_ci_u32_e64 v20, null, s7, v49, s3
	v_add_co_u32 v24, s3, s6, v50
	v_cndmask_b32_e32 v21, v54, v18, vcc_lo
	v_add_co_ci_u32_e64 v25, null, s7, v51, s3
	v_mul_f32_e32 v2, v42, v2
	v_sqrt_f32_e32 v18, v21
	v_add_nc_u32_e32 v27, -1, v18
	v_fma_f32 v48, -v27, v18, v21
	v_cmp_ge_f32_e64 s3, 0, v48
	v_add_nc_u32_e32 v48, 1, v18
	v_fma_f32 v49, -v48, v18, v21
	v_cndmask_b32_e64 v18, v18, v27, s3
	v_cmp_class_f32_e64 s3, v21, 0x260
	v_cmp_lt_f32_e64 s4, 0, v49
	v_cndmask_b32_e64 v27, v18, v48, s4
	v_ashrrev_i32_e32 v18, 31, v17
	v_mul_f32_e32 v48, 0x37800000, v27
	v_lshlrev_b64 v[17:18], 2, v[17:18]
	v_cndmask_b32_e32 v27, v27, v48, vcc_lo
	v_add_co_u32 v17, vcc_lo, s6, v17
	v_add_co_ci_u32_e64 v18, null, s7, v18, vcc_lo
	v_cndmask_b32_e64 v21, v27, v21, s3
	v_div_scale_f32 v27, null, v21, v21, 1.0
	v_rcp_f32_e32 v48, v27
	v_fma_f32 v49, -v27, v48, 1.0
	v_fmac_f32_e32 v48, v49, v48
	v_div_scale_f32 v49, vcc_lo, 1.0, v21, 1.0
	v_mul_f32_e32 v50, v49, v48
	v_fma_f32 v51, -v27, v50, v49
	v_fmac_f32_e32 v50, v51, v48
	v_fma_f32 v27, -v27, v50, v49
	v_div_fmas_f32 v48, v27, v48, v50
	v_add_nc_u32_e32 v50, s8, v26
	v_div_fixup_f32 v21, v48, v21, 1.0
	v_ashrrev_i32_e32 v51, 31, v50
	v_mul_f32_e32 v48, 0.5, v21
	v_lshlrev_b64 v[26:27], 2, v[50:51]
	v_add_nc_u32_e32 v50, s8, v50
	v_mul_f32_e32 v48, v21, v48
	v_add_co_u32 v26, vcc_lo, s6, v26
	v_add_co_ci_u32_e64 v27, null, s7, v27, vcc_lo
	v_mul_f32_e32 v48, v21, v48
	v_fmac_f32_e32 v21, 0.5, v21
	v_fma_f32 v21, -v54, v48, v21
	v_xor_b32_e32 v48, v41, v37
	v_mul_f32_e32 v49, v52, v21
	v_cndmask_b32_e64 v54, 0, v48, s0
	v_mul_f32_e32 v21, v53, v21
	v_mul_f32_e32 v48, v49, v49
	v_xor_b32_e32 v51, v54, v41
	v_mul_f32_e32 v49, v49, v21
	v_xor_b32_e32 v37, v54, v37
	v_fma_f32 v41, v21, v21, -v48
	v_xor_b32_e32 v21, v51, v40
	v_add_f32_e32 v49, v49, v49
	v_mul_f32_e32 v37, v34, v37
	v_cndmask_b32_e64 v53, 0, v21, s1
	v_mul_f32_e32 v21, v28, v49
	v_xor_b32_e32 v48, v53, v51
	v_fmac_f32_e32 v21, v29, v41
	v_xor_b32_e32 v40, v53, v40
	v_mul_f32_e32 v48, v33, v48
	v_max3_f32 v52, -v21, v21, 0x2b8cbccc
	v_xor_b32_e32 v53, v40, v37
	v_mul_f32_e32 v28, v48, v48
	v_mul_f32_e32 v56, v52, v52
	v_cndmask_b32_e64 v53, 0, v53, s2
	v_cmp_le_f32_e32 vcc_lo, 0x2b8cbccc, v28
	v_cndmask_b32_e32 v55, 0, v48, vcc_lo
	v_fmac_f32_e32 v56, v55, v55
	v_cmp_gt_f32_e32 vcc_lo, 0xf800000, v56
	v_mul_f32_e32 v28, 0x4f800000, v56
	v_cndmask_b32_e32 v28, v56, v28, vcc_lo
	v_sqrt_f32_e32 v29, v28
	v_add_nc_u32_e32 v51, -1, v29
	v_fma_f32 v57, -v51, v29, v28
	v_cmp_ge_f32_e64 s3, 0, v57
	v_add_nc_u32_e32 v57, 1, v29
	v_fma_f32 v58, -v57, v29, v28
	v_cndmask_b32_e64 v29, v29, v51, s3
	v_cmp_lt_f32_e64 s4, 0, v58
	v_cndmask_b32_e64 v29, v29, v57, s4
	v_mul_f32_e32 v51, 0x37800000, v29
	v_cndmask_b32_e32 v29, v29, v51, vcc_lo
	v_cmp_class_f32_e64 vcc_lo, v28, 0x260
	v_cndmask_b32_e32 v57, v29, v28, vcc_lo
	v_div_scale_f32 v28, null, v57, v57, 1.0
	v_rcp_f32_e32 v29, v28
	v_fma_f32 v51, -v28, v29, 1.0
	v_fmac_f32_e32 v29, v51, v29
	v_div_scale_f32 v51, vcc_lo, 1.0, v57, 1.0
	v_mul_f32_e32 v58, v51, v29
	v_fma_f32 v59, -v28, v58, v51
	v_fmac_f32_e32 v58, v59, v29
	v_fma_f32 v28, -v28, v58, v51
	v_ashrrev_i32_e32 v51, 31, v50
	v_div_fmas_f32 v58, v28, v29, v58
	v_lshlrev_b64 v[28:29], 2, v[50:51]
	v_add_nc_u32_e32 v50, s8, v50
	v_div_fixup_f32 v51, v58, v57, 1.0
	v_add_co_u32 v28, vcc_lo, s6, v28
	v_add_co_ci_u32_e64 v29, null, s7, v29, vcc_lo
	v_mul_f32_e32 v57, 0.5, v51
	v_cmp_le_f32_e32 vcc_lo, 0, v21
	v_mul_f32_e32 v57, v51, v57
	v_mul_f32_e32 v57, v51, v57
	v_fmac_f32_e32 v51, 0.5, v51
	v_fma_f32 v51, -v56, v57, v51
	v_fmac_f32_e32 v52, v56, v51
	v_cndmask_b32_e32 v56, v52, v55, vcc_lo
	v_cndmask_b32_e32 v55, v55, v52, vcc_lo
	v_mul_f32_e32 v57, v56, v56
	v_fmac_f32_e32 v57, v55, v55
	v_cmp_gt_f32_e32 vcc_lo, 0xf800000, v57
	v_mul_f32_e32 v51, 0x4f800000, v57
	v_cndmask_b32_e32 v51, v57, v51, vcc_lo
	v_sqrt_f32_e32 v52, v51
	v_add_nc_u32_e32 v58, -1, v52
	v_fma_f32 v59, -v58, v52, v51
	v_cmp_ge_f32_e64 s3, 0, v59
	v_add_nc_u32_e32 v59, 1, v52
	v_fma_f32 v60, -v59, v52, v51
	v_cndmask_b32_e64 v52, v52, v58, s3
	v_cmp_lt_f32_e64 s4, 0, v60
	v_cndmask_b32_e64 v52, v52, v59, s4
	v_mul_f32_e32 v58, 0x37800000, v52
	v_cndmask_b32_e32 v52, v52, v58, vcc_lo
	v_cmp_class_f32_e64 vcc_lo, v51, 0x260
	v_cndmask_b32_e32 v58, v52, v51, vcc_lo
	v_div_scale_f32 v51, null, v58, v58, 1.0
	v_rcp_f32_e32 v52, v51
	v_fma_f32 v59, -v51, v52, 1.0
	v_fmac_f32_e32 v52, v59, v52
	v_div_scale_f32 v59, vcc_lo, 1.0, v58, 1.0
	v_mul_f32_e32 v60, v59, v52
	v_fma_f32 v61, -v51, v60, v59
	v_fmac_f32_e32 v60, v61, v52
	v_fma_f32 v51, -v51, v60, v59
	v_div_fmas_f32 v59, v51, v52, v60
	v_ashrrev_i32_e32 v51, 31, v50
	v_div_fixup_f32 v58, v59, v58, 1.0
	v_lshlrev_b64 v[51:52], 2, v[50:51]
	v_mul_f32_e32 v59, 0.5, v58
	v_add_co_u32 v51, vcc_lo, s6, v51
	v_add_co_ci_u32_e64 v52, null, s7, v52, vcc_lo
	v_mul_f32_e32 v59, v58, v59
	v_mul_f32_e32 v59, v58, v59
	v_fmac_f32_e32 v58, 0.5, v58
	v_fma_f32 v57, -v57, v59, v58
	v_mul_f32_e32 v35, v56, v57
	v_mul_f32_e32 v45, v55, v57
	;; [unrolled: 1-line block ×4, first 2 shown]
	v_fma_f32 v45, v45, v45, -v46
	v_xor_b32_e32 v46, v44, v36
	v_add_f32_e32 v55, v35, v35
	v_xor_b32_e32 v35, v53, v37
	v_cndmask_b32_e64 v46, 0, v46, s2
	v_xor_b32_e32 v36, v46, v36
	v_mul_f32_e32 v54, v49, v36
	v_fmac_f32_e32 v54, v41, v38
	v_mul_f32_e32 v37, v54, v55
	v_fma_f32 v37, v45, v35, -v37
	v_mul_f32_e32 v35, v37, v37
	v_cmp_le_f32_e32 vcc_lo, 0x2b8cbccc, v35
	v_mul_f32_e32 v35, v49, v38
	v_cndmask_b32_e32 v54, 0, v37, vcc_lo
	v_fma_f32 v38, v41, v36, -v35
	v_mul_f32_e32 v57, v54, v54
	v_max3_f32 v56, -v38, v38, 0x2b8cbccc
	v_fmac_f32_e32 v57, v56, v56
	v_cmp_gt_f32_e32 vcc_lo, 0xf800000, v57
	v_mul_f32_e32 v35, 0x4f800000, v57
	v_cndmask_b32_e32 v35, v57, v35, vcc_lo
	v_sqrt_f32_e32 v36, v35
	v_add_nc_u32_e32 v58, -1, v36
	v_fma_f32 v59, -v58, v36, v35
	v_cmp_ge_f32_e64 s3, 0, v59
	v_add_nc_u32_e32 v59, 1, v36
	v_fma_f32 v60, -v59, v36, v35
	v_cndmask_b32_e64 v36, v36, v58, s3
	v_cmp_lt_f32_e64 s4, 0, v60
	v_cndmask_b32_e64 v36, v36, v59, s4
	v_mul_f32_e32 v58, 0x37800000, v36
	v_cndmask_b32_e32 v36, v36, v58, vcc_lo
	v_cmp_class_f32_e64 vcc_lo, v35, 0x260
	v_cndmask_b32_e32 v58, v36, v35, vcc_lo
	v_div_scale_f32 v35, null, v58, v58, 1.0
	v_rcp_f32_e32 v36, v35
	v_fma_f32 v59, -v35, v36, 1.0
	v_fmac_f32_e32 v36, v59, v36
	v_div_scale_f32 v59, vcc_lo, 1.0, v58, 1.0
	v_mul_f32_e32 v60, v59, v36
	v_fma_f32 v61, -v35, v60, v59
	v_fmac_f32_e32 v60, v61, v36
	v_fma_f32 v35, -v35, v60, v59
	v_div_fmas_f32 v59, v35, v36, v60
	v_add_nc_u32_e32 v35, s8, v50
	v_div_fixup_f32 v50, v59, v58, 1.0
	v_ashrrev_i32_e32 v36, 31, v35
	v_mul_f32_e32 v58, 0.5, v50
	v_lshlrev_b64 v[35:36], 2, v[35:36]
	v_mul_f32_e32 v58, v50, v58
	v_add_co_u32 v35, vcc_lo, s6, v35
	v_add_co_ci_u32_e64 v36, null, s7, v36, vcc_lo
	v_mul_f32_e32 v58, v50, v58
	v_fmac_f32_e32 v50, 0.5, v50
	v_cmp_le_f32_e32 vcc_lo, 0, v38
	v_fma_f32 v50, -v57, v58, v50
	v_fmac_f32_e32 v56, v57, v50
	v_cndmask_b32_e32 v50, v56, v54, vcc_lo
	v_cndmask_b32_e32 v54, v54, v56, vcc_lo
	v_mul_f32_e32 v56, v50, v50
	v_fmac_f32_e32 v56, v54, v54
	v_cmp_gt_f32_e32 vcc_lo, 0xf800000, v56
	v_mul_f32_e32 v57, 0x4f800000, v56
	v_cndmask_b32_e32 v57, v56, v57, vcc_lo
	v_sqrt_f32_e32 v58, v57
	v_add_nc_u32_e32 v59, -1, v58
	v_fma_f32 v60, -v59, v58, v57
	v_cmp_ge_f32_e64 s3, 0, v60
	v_add_nc_u32_e32 v60, 1, v58
	v_fma_f32 v61, -v60, v58, v57
	v_cndmask_b32_e64 v58, v58, v59, s3
	v_cmp_lt_f32_e64 s4, 0, v61
	v_cndmask_b32_e64 v58, v58, v60, s4
	v_mul_f32_e32 v59, 0x37800000, v58
	v_cndmask_b32_e32 v58, v58, v59, vcc_lo
	v_cmp_class_f32_e64 vcc_lo, v57, 0x260
	v_cndmask_b32_e32 v57, v58, v57, vcc_lo
	v_div_scale_f32 v58, null, v57, v57, 1.0
	v_rcp_f32_e32 v59, v58
	v_fma_f32 v60, -v58, v59, 1.0
	v_fmac_f32_e32 v59, v60, v59
	v_div_scale_f32 v60, vcc_lo, 1.0, v57, 1.0
	v_mul_f32_e32 v61, v60, v59
	v_fma_f32 v62, -v58, v61, v60
	v_fmac_f32_e32 v61, v62, v59
	v_fma_f32 v58, -v58, v61, v60
	v_div_fmas_f32 v58, v58, v59, v61
	v_xor_b32_e32 v59, v32, v31
	v_cndmask_b32_e64 v59, 0, v59, s0
	v_xor_b32_e32 v31, v59, v31
	v_xor_b32_e32 v32, v59, v32
	v_mul_f32_e32 v31, v34, v31
	v_xor_b32_e32 v34, v32, v30
	v_cndmask_b32_e64 v34, 0, v34, s1
	v_xor_b32_e32 v32, v34, v32
	v_xor_b32_e32 v30, v34, v30
	;; [unrolled: 1-line block ×3, first 2 shown]
	v_mul_f32_e32 v32, v33, v32
	v_xor_b32_e32 v33, v47, v39
	v_xor_b32_e32 v39, v53, v40
	;; [unrolled: 1-line block ×3, first 2 shown]
	global_store_dword v[26:27], v2, off
	global_store_dword v[28:29], v32, off
	v_mul_f32_e32 v34, v42, v34
	v_mul_f32_e32 v33, v42, v33
	;; [unrolled: 1-line block ×3, first 2 shown]
	v_cndmask_b32_e64 v40, 0, v40, s2
	v_mul_f32_e32 v28, 0, v49
	v_mul_f32_e32 v27, v34, v49
	;; [unrolled: 1-line block ×3, first 2 shown]
	v_fma_f32 v29, 0, v49, v41
	v_xor_b32_e32 v31, v40, v31
	v_xor_b32_e32 v30, v40, v30
	v_div_fixup_f32 v40, v58, v57, 1.0
	v_fmac_f32_e32 v27, v33, v41
	v_fma_f32 v26, v34, v41, -v26
	v_mul_f32_e32 v34, v48, v55
	v_mul_f32_e32 v30, v42, v30
	v_mul_f32_e32 v2, 0.5, v40
	global_store_dword v[51:52], v31, off
	global_store_dword v[35:36], v30, off
	v_mul_f32_e32 v27, v27, v55
	v_mul_f32_e32 v2, v40, v2
	;; [unrolled: 1-line block ×3, first 2 shown]
	v_fmac_f32_e32 v34, v21, v45
	v_fma_f32 v31, 0, v41, v49
	v_fma_f32 v33, 0, v41, v28
	v_mul_f32_e32 v2, v40, v2
	v_fmac_f32_e32 v40, 0.5, v40
	v_fma_f32 v27, v39, v45, -v27
	v_fma_f32 v39, v29, v45, v35
	v_fma_f32 v30, v41, 0, -v49
	v_fmac_f32_e32 v35, v31, v45
	v_fma_f32 v2, -v56, v2, v40
	v_mul_f32_e32 v40, 0, v45
	v_fmamk_f32 v32, v49, 0x80000000, v41
	v_fma_f32 v28, v41, 0, -v28
	v_fma_f32 v41, v33, v45, v55
	v_mul_f32_e32 v36, v54, v2
	v_mul_f32_e32 v2, v50, v2
	v_fma_f32 v29, -v29, v55, v40
	v_fma_f32 v31, -v31, v55, v40
	;; [unrolled: 1-line block ×3, first 2 shown]
	global_store_dword v[15:16], v39, off
	v_mul_f32_e32 v21, v2, v36
	v_mul_f32_e32 v2, v2, v2
	v_add_f32_e32 v21, v21, v21
	v_fma_f32 v2, v36, v36, -v2
	v_mul_f32_e32 v36, v29, v21
	v_mul_f32_e32 v16, v26, v21
	;; [unrolled: 1-line block ×8, first 2 shown]
	v_fmac_f32_e32 v36, v30, v2
	v_fma_f32 v26, v29, v2, -v26
	v_fmac_f32_e32 v39, v32, v2
	v_fma_f32 v16, v27, v2, -v16
	v_fma_f32 v27, v31, v2, -v37
	v_fmac_f32_e32 v15, v38, v2
	v_fmac_f32_e32 v21, v28, v2
	v_fma_f32 v2, v33, v2, -v40
	global_store_dword v[0:1], v36, off
	global_store_dword v[9:10], v26, off
	;; [unrolled: 1-line block ×11, first 2 shown]
.LBB0_4:
	s_endpgm
	.section	.rodata,"a",@progbits
	.p2align	6, 0x0
	.amdhsa_kernel _Z8svd3_SOAPKfPfi
		.amdhsa_group_segment_fixed_size 0
		.amdhsa_private_segment_fixed_size 0
		.amdhsa_kernarg_size 280
		.amdhsa_user_sgpr_count 6
		.amdhsa_user_sgpr_private_segment_buffer 1
		.amdhsa_user_sgpr_dispatch_ptr 0
		.amdhsa_user_sgpr_queue_ptr 0
		.amdhsa_user_sgpr_kernarg_segment_ptr 1
		.amdhsa_user_sgpr_dispatch_id 0
		.amdhsa_user_sgpr_flat_scratch_init 0
		.amdhsa_user_sgpr_private_segment_size 0
		.amdhsa_wavefront_size32 1
		.amdhsa_uses_dynamic_stack 0
		.amdhsa_system_sgpr_private_segment_wavefront_offset 0
		.amdhsa_system_sgpr_workgroup_id_x 1
		.amdhsa_system_sgpr_workgroup_id_y 0
		.amdhsa_system_sgpr_workgroup_id_z 0
		.amdhsa_system_sgpr_workgroup_info 0
		.amdhsa_system_vgpr_workitem_id 0
		.amdhsa_next_free_vgpr 63
		.amdhsa_next_free_sgpr 10
		.amdhsa_reserve_vcc 1
		.amdhsa_reserve_flat_scratch 0
		.amdhsa_float_round_mode_32 0
		.amdhsa_float_round_mode_16_64 0
		.amdhsa_float_denorm_mode_32 3
		.amdhsa_float_denorm_mode_16_64 3
		.amdhsa_dx10_clamp 1
		.amdhsa_ieee_mode 1
		.amdhsa_fp16_overflow 0
		.amdhsa_workgroup_processor_mode 1
		.amdhsa_memory_ordered 1
		.amdhsa_forward_progress 1
		.amdhsa_shared_vgpr_count 0
		.amdhsa_exception_fp_ieee_invalid_op 0
		.amdhsa_exception_fp_denorm_src 0
		.amdhsa_exception_fp_ieee_div_zero 0
		.amdhsa_exception_fp_ieee_overflow 0
		.amdhsa_exception_fp_ieee_underflow 0
		.amdhsa_exception_fp_ieee_inexact 0
		.amdhsa_exception_int_div_zero 0
	.end_amdhsa_kernel
	.text
.Lfunc_end0:
	.size	_Z8svd3_SOAPKfPfi, .Lfunc_end0-_Z8svd3_SOAPKfPfi
                                        ; -- End function
	.set _Z8svd3_SOAPKfPfi.num_vgpr, 63
	.set _Z8svd3_SOAPKfPfi.num_agpr, 0
	.set _Z8svd3_SOAPKfPfi.numbered_sgpr, 10
	.set _Z8svd3_SOAPKfPfi.num_named_barrier, 0
	.set _Z8svd3_SOAPKfPfi.private_seg_size, 0
	.set _Z8svd3_SOAPKfPfi.uses_vcc, 1
	.set _Z8svd3_SOAPKfPfi.uses_flat_scratch, 0
	.set _Z8svd3_SOAPKfPfi.has_dyn_sized_stack, 0
	.set _Z8svd3_SOAPKfPfi.has_recursion, 0
	.set _Z8svd3_SOAPKfPfi.has_indirect_call, 0
	.section	.AMDGPU.csdata,"",@progbits
; Kernel info:
; codeLenInByte = 5360
; TotalNumSgprs: 12
; NumVgprs: 63
; ScratchSize: 0
; MemoryBound: 0
; FloatMode: 240
; IeeeMode: 1
; LDSByteSize: 0 bytes/workgroup (compile time only)
; SGPRBlocks: 0
; VGPRBlocks: 7
; NumSGPRsForWavesPerEU: 12
; NumVGPRsForWavesPerEU: 63
; Occupancy: 16
; WaveLimiterHint : 0
; COMPUTE_PGM_RSRC2:SCRATCH_EN: 0
; COMPUTE_PGM_RSRC2:USER_SGPR: 6
; COMPUTE_PGM_RSRC2:TRAP_HANDLER: 0
; COMPUTE_PGM_RSRC2:TGID_X_EN: 1
; COMPUTE_PGM_RSRC2:TGID_Y_EN: 0
; COMPUTE_PGM_RSRC2:TGID_Z_EN: 0
; COMPUTE_PGM_RSRC2:TIDIG_COMP_CNT: 0
	.text
	.p2alignl 6, 3214868480
	.fill 48, 4, 3214868480
	.section	.AMDGPU.gpr_maximums,"",@progbits
	.set amdgpu.max_num_vgpr, 0
	.set amdgpu.max_num_agpr, 0
	.set amdgpu.max_num_sgpr, 0
	.text
	.type	__hip_cuid_d2a1dbc60ef6301f,@object ; @__hip_cuid_d2a1dbc60ef6301f
	.section	.bss,"aw",@nobits
	.globl	__hip_cuid_d2a1dbc60ef6301f
__hip_cuid_d2a1dbc60ef6301f:
	.byte	0                               ; 0x0
	.size	__hip_cuid_d2a1dbc60ef6301f, 1

	.ident	"AMD clang version 22.0.0git (https://github.com/RadeonOpenCompute/llvm-project roc-7.2.4 26084 f58b06dce1f9c15707c5f808fd002e18c2accf7e)"
	.section	".note.GNU-stack","",@progbits
	.addrsig
	.addrsig_sym __hip_cuid_d2a1dbc60ef6301f
	.amdgpu_metadata
---
amdhsa.kernels:
  - .args:
      - .actual_access:  read_only
        .address_space:  global
        .offset:         0
        .size:           8
        .value_kind:     global_buffer
      - .actual_access:  write_only
        .address_space:  global
        .offset:         8
        .size:           8
        .value_kind:     global_buffer
      - .offset:         16
        .size:           4
        .value_kind:     by_value
      - .offset:         24
        .size:           4
        .value_kind:     hidden_block_count_x
      - .offset:         28
        .size:           4
        .value_kind:     hidden_block_count_y
      - .offset:         32
        .size:           4
        .value_kind:     hidden_block_count_z
      - .offset:         36
        .size:           2
        .value_kind:     hidden_group_size_x
      - .offset:         38
        .size:           2
        .value_kind:     hidden_group_size_y
      - .offset:         40
        .size:           2
        .value_kind:     hidden_group_size_z
      - .offset:         42
        .size:           2
        .value_kind:     hidden_remainder_x
      - .offset:         44
        .size:           2
        .value_kind:     hidden_remainder_y
      - .offset:         46
        .size:           2
        .value_kind:     hidden_remainder_z
      - .offset:         64
        .size:           8
        .value_kind:     hidden_global_offset_x
      - .offset:         72
        .size:           8
        .value_kind:     hidden_global_offset_y
      - .offset:         80
        .size:           8
        .value_kind:     hidden_global_offset_z
      - .offset:         88
        .size:           2
        .value_kind:     hidden_grid_dims
    .group_segment_fixed_size: 0
    .kernarg_segment_align: 8
    .kernarg_segment_size: 280
    .language:       OpenCL C
    .language_version:
      - 2
      - 0
    .max_flat_workgroup_size: 1024
    .name:           _Z8svd3_SOAPKfPfi
    .private_segment_fixed_size: 0
    .sgpr_count:     12
    .sgpr_spill_count: 0
    .symbol:         _Z8svd3_SOAPKfPfi.kd
    .uniform_work_group_size: 1
    .uses_dynamic_stack: false
    .vgpr_count:     63
    .vgpr_spill_count: 0
    .wavefront_size: 32
    .workgroup_processor_mode: 1
amdhsa.target:   amdgcn-amd-amdhsa--gfx1030
amdhsa.version:
  - 1
  - 2
...

	.end_amdgpu_metadata
